;; amdgpu-corpus repo=ggml-org/llama.cpp kind=compiled arch=gfx906 opt=O3
	.amdgcn_target "amdgcn-amd-amdhsa--gfx906"
	.amdhsa_code_object_version 6
	.section	.text._ZL25pad_reflect_1d_kernel_f32PKvPvll15HIP_vector_typeIjLj3EEllllllllllii,"axG",@progbits,_ZL25pad_reflect_1d_kernel_f32PKvPvll15HIP_vector_typeIjLj3EEllllllllllii,comdat
	.globl	_ZL25pad_reflect_1d_kernel_f32PKvPvll15HIP_vector_typeIjLj3EEllllllllllii ; -- Begin function _ZL25pad_reflect_1d_kernel_f32PKvPvll15HIP_vector_typeIjLj3EEllllllllllii
	.p2align	8
	.type	_ZL25pad_reflect_1d_kernel_f32PKvPvll15HIP_vector_typeIjLj3EEllllllllllii,@function
_ZL25pad_reflect_1d_kernel_f32PKvPvll15HIP_vector_typeIjLj3EEllllllllllii: ; @_ZL25pad_reflect_1d_kernel_f32PKvPvll15HIP_vector_typeIjLj3EEllllllllllii
; %bb.0:
	s_load_dwordx8 s[36:43], s[4:5], 0x10
	s_load_dwordx16 s[12:27], s[4:5], 0x30
	s_load_dword s0, s[4:5], 0x94
	s_mov_b32 s2, s7
	v_mov_b32_e32 v1, 0
	s_waitcnt lgkmcnt(0)
	s_mul_hi_u32 s1, s40, s6
	s_add_i32 s1, s6, s1
	s_and_b32 s0, s0, 0xffff
	s_lshr_b32 s7, s1, s41
	v_mov_b32_e32 v2, s0
	v_mad_u64_u32 v[0:1], s[0:1], s7, v2, v[0:1]
	s_mul_i32 s7, s7, s42
	s_mov_b32 s9, 0
	s_sub_i32 s6, s6, s7
	s_mov_b32 s3, s9
	v_cmp_gt_i64_e32 vcc, s[36:37], v[0:1]
	s_cmp_lt_u32 s6, s42
	v_mov_b32_e32 v2, s2
	s_cselect_b64 s[0:1], -1, 0
	v_mov_b32_e32 v3, s3
	s_and_b64 s[10:11], vcc, s[0:1]
	v_cmp_gt_i64_e32 vcc, s[12:13], v[2:3]
	v_mov_b32_e32 v2, s8
	v_mov_b32_e32 v3, s9
	v_cmp_gt_i64_e64 s[0:1], s[14:15], v[2:3]
	s_and_b64 s[10:11], vcc, s[10:11]
	s_and_b64 s[0:1], s[0:1], s[10:11]
	s_and_saveexec_b64 s[10:11], s[0:1]
	s_cbranch_execz .LBB0_4
; %bb.1:
	s_load_dword s0, s[4:5], 0x80
	s_load_dwordx4 s[12:15], s[4:5], 0x0
	s_waitcnt lgkmcnt(0)
	s_ashr_i32 s1, s0, 31
	v_mov_b32_e32 v3, s1
	v_subrev_co_u32_e32 v2, vcc, s0, v0
	v_subb_co_u32_e32 v3, vcc, v1, v3, vcc
	v_cmp_lt_i64_e32 vcc, -1, v[2:3]
	v_sub_co_u32_e64 v5, s[0:1], 0, v2
	v_subb_co_u32_e64 v4, s[0:1], 0, v3, s[0:1]
	s_and_saveexec_b64 s[0:1], vcc
	s_cbranch_execz .LBB0_3
; %bb.2:
	s_lshl_b64 s[10:11], s[38:39], 1
	v_mov_b32_e32 v4, s11
	v_sub_co_u32_e32 v5, vcc, s10, v2
	v_subb_co_u32_e32 v4, vcc, v4, v3, vcc
	v_add_co_u32_e32 v5, vcc, -2, v5
	v_addc_co_u32_e32 v4, vcc, -1, v4, vcc
	v_cmp_gt_i64_e32 vcc, s[38:39], v[2:3]
	v_cndmask_b32_e32 v4, v4, v3, vcc
	v_cndmask_b32_e32 v5, v5, v2, vcc
.LBB0_3:
	s_or_b64 exec, exec, s[0:1]
	s_mul_i32 s0, s23, s8
	s_mul_hi_u32 s1, s22, s8
	s_add_i32 s1, s1, s0
	s_mul_i32 s0, s22, s8
	s_add_u32 s0, s12, s0
	s_mul_i32 s3, s21, s2
	s_mul_hi_u32 s7, s20, s2
	s_addc_u32 s1, s13, s1
	s_add_i32 s7, s7, s3
	s_mul_i32 s3, s20, s2
	s_add_u32 s0, s0, s3
	s_addc_u32 s1, s1, s7
	s_mul_i32 s3, s19, s6
	s_mul_hi_u32 s7, s18, s6
	s_add_i32 s7, s7, s3
	s_mul_i32 s3, s18, s6
	s_add_u32 s0, s0, s3
	s_addc_u32 s1, s1, s7
	v_mov_b32_e32 v3, s1
	v_mov_b32_e32 v2, s0
	v_mad_u64_u32 v[2:3], s[0:1], v5, s16, v[2:3]
	v_mul_lo_u32 v5, v5, s17
	v_mul_lo_u32 v4, v4, s16
	s_load_dwordx4 s[16:19], s[4:5], 0x70
	v_mul_lo_u32 v1, v1, s24
	v_add3_u32 v3, v4, v3, v5
	global_load_dword v4, v[2:3], off
	s_waitcnt lgkmcnt(0)
	s_mul_i32 s0, s19, s8
	s_mul_hi_u32 s1, s18, s8
	s_add_i32 s1, s1, s0
	s_mul_i32 s0, s18, s8
	s_add_u32 s0, s14, s0
	s_mul_i32 s3, s17, s2
	s_mul_hi_u32 s4, s16, s2
	s_addc_u32 s1, s15, s1
	s_add_i32 s4, s4, s3
	s_mul_i32 s2, s16, s2
	s_add_u32 s0, s0, s2
	s_mul_i32 s2, s27, s6
	s_mul_hi_u32 s3, s26, s6
	s_addc_u32 s1, s1, s4
	s_add_i32 s3, s3, s2
	s_mul_i32 s2, s26, s6
	s_add_u32 s0, s0, s2
	s_addc_u32 s1, s1, s3
	v_mov_b32_e32 v3, s1
	v_mov_b32_e32 v2, s0
	v_mad_u64_u32 v[2:3], s[0:1], v0, s24, v[2:3]
	v_mul_lo_u32 v0, v0, s25
	v_add3_u32 v3, v1, v3, v0
	s_waitcnt vmcnt(0)
	global_store_dword v[2:3], v4, off
.LBB0_4:
	s_endpgm
	.section	.rodata,"a",@progbits
	.p2align	6, 0x0
	.amdhsa_kernel _ZL25pad_reflect_1d_kernel_f32PKvPvll15HIP_vector_typeIjLj3EEllllllllllii
		.amdhsa_group_segment_fixed_size 0
		.amdhsa_private_segment_fixed_size 0
		.amdhsa_kernarg_size 392
		.amdhsa_user_sgpr_count 6
		.amdhsa_user_sgpr_private_segment_buffer 1
		.amdhsa_user_sgpr_dispatch_ptr 0
		.amdhsa_user_sgpr_queue_ptr 0
		.amdhsa_user_sgpr_kernarg_segment_ptr 1
		.amdhsa_user_sgpr_dispatch_id 0
		.amdhsa_user_sgpr_flat_scratch_init 0
		.amdhsa_user_sgpr_private_segment_size 0
		.amdhsa_uses_dynamic_stack 0
		.amdhsa_system_sgpr_private_segment_wavefront_offset 0
		.amdhsa_system_sgpr_workgroup_id_x 1
		.amdhsa_system_sgpr_workgroup_id_y 1
		.amdhsa_system_sgpr_workgroup_id_z 1
		.amdhsa_system_sgpr_workgroup_info 0
		.amdhsa_system_vgpr_workitem_id 0
		.amdhsa_next_free_vgpr 6
		.amdhsa_next_free_sgpr 44
		.amdhsa_reserve_vcc 1
		.amdhsa_reserve_flat_scratch 0
		.amdhsa_float_round_mode_32 0
		.amdhsa_float_round_mode_16_64 0
		.amdhsa_float_denorm_mode_32 3
		.amdhsa_float_denorm_mode_16_64 3
		.amdhsa_dx10_clamp 1
		.amdhsa_ieee_mode 1
		.amdhsa_fp16_overflow 0
		.amdhsa_exception_fp_ieee_invalid_op 0
		.amdhsa_exception_fp_denorm_src 0
		.amdhsa_exception_fp_ieee_div_zero 0
		.amdhsa_exception_fp_ieee_overflow 0
		.amdhsa_exception_fp_ieee_underflow 0
		.amdhsa_exception_fp_ieee_inexact 0
		.amdhsa_exception_int_div_zero 0
	.end_amdhsa_kernel
	.section	.text._ZL25pad_reflect_1d_kernel_f32PKvPvll15HIP_vector_typeIjLj3EEllllllllllii,"axG",@progbits,_ZL25pad_reflect_1d_kernel_f32PKvPvll15HIP_vector_typeIjLj3EEllllllllllii,comdat
.Lfunc_end0:
	.size	_ZL25pad_reflect_1d_kernel_f32PKvPvll15HIP_vector_typeIjLj3EEllllllllllii, .Lfunc_end0-_ZL25pad_reflect_1d_kernel_f32PKvPvll15HIP_vector_typeIjLj3EEllllllllllii
                                        ; -- End function
	.set _ZL25pad_reflect_1d_kernel_f32PKvPvll15HIP_vector_typeIjLj3EEllllllllllii.num_vgpr, 6
	.set _ZL25pad_reflect_1d_kernel_f32PKvPvll15HIP_vector_typeIjLj3EEllllllllllii.num_agpr, 0
	.set _ZL25pad_reflect_1d_kernel_f32PKvPvll15HIP_vector_typeIjLj3EEllllllllllii.numbered_sgpr, 44
	.set _ZL25pad_reflect_1d_kernel_f32PKvPvll15HIP_vector_typeIjLj3EEllllllllllii.num_named_barrier, 0
	.set _ZL25pad_reflect_1d_kernel_f32PKvPvll15HIP_vector_typeIjLj3EEllllllllllii.private_seg_size, 0
	.set _ZL25pad_reflect_1d_kernel_f32PKvPvll15HIP_vector_typeIjLj3EEllllllllllii.uses_vcc, 1
	.set _ZL25pad_reflect_1d_kernel_f32PKvPvll15HIP_vector_typeIjLj3EEllllllllllii.uses_flat_scratch, 0
	.set _ZL25pad_reflect_1d_kernel_f32PKvPvll15HIP_vector_typeIjLj3EEllllllllllii.has_dyn_sized_stack, 0
	.set _ZL25pad_reflect_1d_kernel_f32PKvPvll15HIP_vector_typeIjLj3EEllllllllllii.has_recursion, 0
	.set _ZL25pad_reflect_1d_kernel_f32PKvPvll15HIP_vector_typeIjLj3EEllllllllllii.has_indirect_call, 0
	.section	.AMDGPU.csdata,"",@progbits
; Kernel info:
; codeLenInByte = 508
; TotalNumSgprs: 48
; NumVgprs: 6
; ScratchSize: 0
; MemoryBound: 0
; FloatMode: 240
; IeeeMode: 1
; LDSByteSize: 0 bytes/workgroup (compile time only)
; SGPRBlocks: 5
; VGPRBlocks: 1
; NumSGPRsForWavesPerEU: 48
; NumVGPRsForWavesPerEU: 6
; Occupancy: 10
; WaveLimiterHint : 0
; COMPUTE_PGM_RSRC2:SCRATCH_EN: 0
; COMPUTE_PGM_RSRC2:USER_SGPR: 6
; COMPUTE_PGM_RSRC2:TRAP_HANDLER: 0
; COMPUTE_PGM_RSRC2:TGID_X_EN: 1
; COMPUTE_PGM_RSRC2:TGID_Y_EN: 1
; COMPUTE_PGM_RSRC2:TGID_Z_EN: 1
; COMPUTE_PGM_RSRC2:TIDIG_COMP_CNT: 0
	.section	.AMDGPU.gpr_maximums,"",@progbits
	.set amdgpu.max_num_vgpr, 0
	.set amdgpu.max_num_agpr, 0
	.set amdgpu.max_num_sgpr, 0
	.section	.AMDGPU.csdata,"",@progbits
	.type	__hip_cuid_ab8671dbb8588eab,@object ; @__hip_cuid_ab8671dbb8588eab
	.section	.bss,"aw",@nobits
	.globl	__hip_cuid_ab8671dbb8588eab
__hip_cuid_ab8671dbb8588eab:
	.byte	0                               ; 0x0
	.size	__hip_cuid_ab8671dbb8588eab, 1

	.ident	"AMD clang version 22.0.0git (https://github.com/RadeonOpenCompute/llvm-project roc-7.2.4 26084 f58b06dce1f9c15707c5f808fd002e18c2accf7e)"
	.section	".note.GNU-stack","",@progbits
	.addrsig
	.addrsig_sym __hip_cuid_ab8671dbb8588eab
	.amdgpu_metadata
---
amdhsa.kernels:
  - .args:
      - .actual_access:  read_only
        .address_space:  global
        .offset:         0
        .size:           8
        .value_kind:     global_buffer
      - .actual_access:  write_only
        .address_space:  global
        .offset:         8
        .size:           8
        .value_kind:     global_buffer
      - .offset:         16
        .size:           8
        .value_kind:     by_value
      - .offset:         24
        .size:           8
        .value_kind:     by_value
      - .offset:         32
        .size:           12
        .value_kind:     by_value
      - .offset:         48
        .size:           8
        .value_kind:     by_value
      - .offset:         56
        .size:           8
        .value_kind:     by_value
      - .offset:         64
        .size:           8
        .value_kind:     by_value
      - .offset:         72
        .size:           8
        .value_kind:     by_value
      - .offset:         80
        .size:           8
        .value_kind:     by_value
      - .offset:         88
        .size:           8
        .value_kind:     by_value
      - .offset:         96
        .size:           8
        .value_kind:     by_value
      - .offset:         104
        .size:           8
        .value_kind:     by_value
      - .offset:         112
        .size:           8
        .value_kind:     by_value
      - .offset:         120
        .size:           8
        .value_kind:     by_value
      - .offset:         128
        .size:           4
        .value_kind:     by_value
      - .offset:         132
        .size:           4
        .value_kind:     by_value
      - .offset:         136
        .size:           4
        .value_kind:     hidden_block_count_x
      - .offset:         140
        .size:           4
        .value_kind:     hidden_block_count_y
      - .offset:         144
        .size:           4
        .value_kind:     hidden_block_count_z
      - .offset:         148
        .size:           2
        .value_kind:     hidden_group_size_x
      - .offset:         150
        .size:           2
        .value_kind:     hidden_group_size_y
      - .offset:         152
        .size:           2
        .value_kind:     hidden_group_size_z
      - .offset:         154
        .size:           2
        .value_kind:     hidden_remainder_x
      - .offset:         156
        .size:           2
        .value_kind:     hidden_remainder_y
      - .offset:         158
        .size:           2
        .value_kind:     hidden_remainder_z
      - .offset:         176
        .size:           8
        .value_kind:     hidden_global_offset_x
      - .offset:         184
        .size:           8
        .value_kind:     hidden_global_offset_y
      - .offset:         192
        .size:           8
        .value_kind:     hidden_global_offset_z
      - .offset:         200
        .size:           2
        .value_kind:     hidden_grid_dims
    .group_segment_fixed_size: 0
    .kernarg_segment_align: 8
    .kernarg_segment_size: 392
    .language:       OpenCL C
    .language_version:
      - 2
      - 0
    .max_flat_workgroup_size: 256
    .name:           _ZL25pad_reflect_1d_kernel_f32PKvPvll15HIP_vector_typeIjLj3EEllllllllllii
    .private_segment_fixed_size: 0
    .sgpr_count:     48
    .sgpr_spill_count: 0
    .symbol:         _ZL25pad_reflect_1d_kernel_f32PKvPvll15HIP_vector_typeIjLj3EEllllllllllii.kd
    .uniform_work_group_size: 1
    .uses_dynamic_stack: false
    .vgpr_count:     6
    .vgpr_spill_count: 0
    .wavefront_size: 64
amdhsa.target:   amdgcn-amd-amdhsa--gfx906
amdhsa.version:
  - 1
  - 2
...

	.end_amdgpu_metadata
